;; amdgpu-corpus repo=ROCm/rocFFT kind=compiled arch=gfx950 opt=O3
	.text
	.amdgcn_target "amdgcn-amd-amdhsa--gfx950"
	.amdhsa_code_object_version 6
	.protected	fft_rtc_back_len264_factors_8_3_11_wgs_231_tpt_33_sp_op_CI_CI_unitstride_sbrr_C2R_dirReg ; -- Begin function fft_rtc_back_len264_factors_8_3_11_wgs_231_tpt_33_sp_op_CI_CI_unitstride_sbrr_C2R_dirReg
	.globl	fft_rtc_back_len264_factors_8_3_11_wgs_231_tpt_33_sp_op_CI_CI_unitstride_sbrr_C2R_dirReg
	.p2align	8
	.type	fft_rtc_back_len264_factors_8_3_11_wgs_231_tpt_33_sp_op_CI_CI_unitstride_sbrr_C2R_dirReg,@function
fft_rtc_back_len264_factors_8_3_11_wgs_231_tpt_33_sp_op_CI_CI_unitstride_sbrr_C2R_dirReg: ; @fft_rtc_back_len264_factors_8_3_11_wgs_231_tpt_33_sp_op_CI_CI_unitstride_sbrr_C2R_dirReg
; %bb.0:
	s_load_dwordx4 s[4:7], s[0:1], 0x58
	s_load_dwordx4 s[8:11], s[0:1], 0x0
	;; [unrolled: 1-line block ×3, first 2 shown]
	v_mul_u32_u24_e32 v1, 0x7c2, v0
	v_lshrrev_b32_e32 v2, 16, v1
	v_mad_u64_u32 v[4:5], s[2:3], s2, 7, v[2:3]
	v_mov_b32_e32 v6, 0
	v_mov_b32_e32 v5, v6
	s_waitcnt lgkmcnt(0)
	v_cmp_lt_u64_e64 s[2:3], s[10:11], 2
	v_mov_b64_e32 v[2:3], 0
	s_and_b64 vcc, exec, s[2:3]
	v_mov_b64_e32 v[20:21], v[2:3]
	v_mov_b64_e32 v[22:23], v[4:5]
	s_cbranch_vccnz .LBB0_8
; %bb.1:
	s_load_dwordx2 s[2:3], s[0:1], 0x10
	s_add_u32 s16, s14, 8
	s_addc_u32 s17, s15, 0
	s_add_u32 s18, s12, 8
	s_addc_u32 s19, s13, 0
	s_waitcnt lgkmcnt(0)
	s_add_u32 s20, s2, 8
	v_mov_b64_e32 v[2:3], 0
	s_addc_u32 s21, s3, 0
	s_mov_b64 s[22:23], 1
	v_mov_b64_e32 v[20:21], v[2:3]
	v_mov_b64_e32 v[8:9], v[4:5]
.LBB0_2:                                ; =>This Inner Loop Header: Depth=1
	s_load_dwordx2 s[24:25], s[20:21], 0x0
                                        ; implicit-def: $vgpr22_vgpr23
	s_waitcnt lgkmcnt(0)
	v_or_b32_e32 v7, s25, v9
	v_cmp_ne_u64_e32 vcc, 0, v[6:7]
	s_and_saveexec_b64 s[2:3], vcc
	s_xor_b64 s[26:27], exec, s[2:3]
	s_cbranch_execz .LBB0_4
; %bb.3:                                ;   in Loop: Header=BB0_2 Depth=1
	v_cvt_f32_u32_e32 v1, s24
	v_cvt_f32_u32_e32 v5, s25
	s_sub_u32 s2, 0, s24
	s_subb_u32 s3, 0, s25
	v_fmac_f32_e32 v1, 0x4f800000, v5
	v_rcp_f32_e32 v1, v1
	s_nop 0
	v_mul_f32_e32 v1, 0x5f7ffffc, v1
	v_mul_f32_e32 v5, 0x2f800000, v1
	v_trunc_f32_e32 v5, v5
	v_fmac_f32_e32 v1, 0xcf800000, v5
	v_cvt_u32_f32_e32 v5, v5
	v_cvt_u32_f32_e32 v1, v1
	v_mul_lo_u32 v7, s2, v5
	v_mul_hi_u32 v10, s2, v1
	v_mul_lo_u32 v11, s3, v1
	v_add_u32_e32 v7, v10, v7
	v_mul_lo_u32 v14, s2, v1
	v_add_u32_e32 v7, v7, v11
	v_mul_hi_u32 v10, v1, v14
	v_mul_hi_u32 v13, v1, v7
	v_mul_lo_u32 v12, v1, v7
	v_mov_b32_e32 v11, v6
	v_lshl_add_u64 v[10:11], v[10:11], 0, v[12:13]
	v_mul_hi_u32 v13, v5, v14
	v_mul_lo_u32 v14, v5, v14
	v_add_co_u32_e32 v10, vcc, v10, v14
	v_mul_hi_u32 v12, v5, v7
	s_nop 0
	v_addc_co_u32_e32 v10, vcc, v11, v13, vcc
	v_mov_b32_e32 v11, v6
	s_nop 0
	v_addc_co_u32_e32 v13, vcc, 0, v12, vcc
	v_mul_lo_u32 v12, v5, v7
	v_lshl_add_u64 v[10:11], v[10:11], 0, v[12:13]
	v_add_co_u32_e32 v1, vcc, v1, v10
	v_mul_hi_u32 v10, s2, v1
	s_nop 0
	v_addc_co_u32_e32 v5, vcc, v5, v11, vcc
	v_mul_lo_u32 v7, s2, v5
	v_add_u32_e32 v7, v10, v7
	v_mul_lo_u32 v10, s3, v1
	v_add_u32_e32 v7, v7, v10
	v_mul_lo_u32 v12, s2, v1
	v_mul_hi_u32 v15, v5, v12
	v_mul_lo_u32 v16, v5, v12
	v_mul_hi_u32 v11, v1, v7
	;; [unrolled: 2-line block ×3, first 2 shown]
	v_mov_b32_e32 v13, v6
	v_lshl_add_u64 v[10:11], v[12:13], 0, v[10:11]
	v_add_co_u32_e32 v10, vcc, v10, v16
	v_mul_hi_u32 v14, v5, v7
	s_nop 0
	v_addc_co_u32_e32 v10, vcc, v11, v15, vcc
	v_mul_lo_u32 v12, v5, v7
	s_nop 0
	v_addc_co_u32_e32 v13, vcc, 0, v14, vcc
	v_mov_b32_e32 v11, v6
	v_lshl_add_u64 v[10:11], v[10:11], 0, v[12:13]
	v_add_co_u32_e32 v1, vcc, v1, v10
	v_mul_hi_u32 v12, v8, v1
	s_nop 0
	v_addc_co_u32_e32 v5, vcc, v5, v11, vcc
	v_mad_u64_u32 v[10:11], s[2:3], v8, v5, 0
	v_mov_b32_e32 v13, v6
	v_lshl_add_u64 v[10:11], v[12:13], 0, v[10:11]
	v_mad_u64_u32 v[14:15], s[2:3], v9, v1, 0
	v_add_co_u32_e32 v1, vcc, v10, v14
	v_mad_u64_u32 v[12:13], s[2:3], v9, v5, 0
	s_nop 0
	v_addc_co_u32_e32 v10, vcc, v11, v15, vcc
	v_mov_b32_e32 v11, v6
	s_nop 0
	v_addc_co_u32_e32 v13, vcc, 0, v13, vcc
	v_lshl_add_u64 v[10:11], v[10:11], 0, v[12:13]
	v_mul_lo_u32 v1, s25, v10
	v_mul_lo_u32 v5, s24, v11
	v_mad_u64_u32 v[12:13], s[2:3], s24, v10, 0
	v_add3_u32 v1, v13, v5, v1
	v_sub_u32_e32 v5, v9, v1
	v_mov_b32_e32 v7, s25
	v_sub_co_u32_e32 v16, vcc, v8, v12
	v_lshl_add_u64 v[14:15], v[10:11], 0, 1
	s_nop 0
	v_subb_co_u32_e64 v5, s[2:3], v5, v7, vcc
	v_subrev_co_u32_e64 v7, s[2:3], s24, v16
	v_subb_co_u32_e32 v1, vcc, v9, v1, vcc
	s_nop 0
	v_subbrev_co_u32_e64 v5, s[2:3], 0, v5, s[2:3]
	v_cmp_le_u32_e64 s[2:3], s25, v5
	v_cmp_le_u32_e32 vcc, s25, v1
	s_nop 0
	v_cndmask_b32_e64 v12, 0, -1, s[2:3]
	v_cmp_le_u32_e64 s[2:3], s24, v7
	s_nop 1
	v_cndmask_b32_e64 v7, 0, -1, s[2:3]
	v_cmp_eq_u32_e64 s[2:3], s25, v5
	s_nop 1
	v_cndmask_b32_e64 v5, v12, v7, s[2:3]
	v_lshl_add_u64 v[12:13], v[10:11], 0, 2
	v_cmp_ne_u32_e64 s[2:3], 0, v5
	v_cndmask_b32_e64 v7, 0, -1, vcc
	v_cmp_le_u32_e32 vcc, s24, v16
	v_cndmask_b32_e64 v5, v15, v13, s[2:3]
	s_nop 0
	v_cndmask_b32_e64 v13, 0, -1, vcc
	v_cmp_eq_u32_e32 vcc, s25, v1
	s_nop 1
	v_cndmask_b32_e32 v1, v7, v13, vcc
	v_cmp_ne_u32_e32 vcc, 0, v1
	v_cndmask_b32_e64 v1, v14, v12, s[2:3]
	s_nop 0
	v_cndmask_b32_e32 v23, v11, v5, vcc
	v_cndmask_b32_e32 v22, v10, v1, vcc
.LBB0_4:                                ;   in Loop: Header=BB0_2 Depth=1
	s_andn2_saveexec_b64 s[2:3], s[26:27]
	s_cbranch_execz .LBB0_6
; %bb.5:                                ;   in Loop: Header=BB0_2 Depth=1
	v_cvt_f32_u32_e32 v1, s24
	s_sub_i32 s26, 0, s24
	v_mov_b32_e32 v23, v6
	v_rcp_iflag_f32_e32 v1, v1
	s_nop 0
	v_mul_f32_e32 v1, 0x4f7ffffe, v1
	v_cvt_u32_f32_e32 v1, v1
	v_mul_lo_u32 v5, s26, v1
	v_mul_hi_u32 v5, v1, v5
	v_add_u32_e32 v1, v1, v5
	v_mul_hi_u32 v1, v8, v1
	v_mul_lo_u32 v5, v1, s24
	v_sub_u32_e32 v5, v8, v5
	v_add_u32_e32 v7, 1, v1
	v_subrev_u32_e32 v10, s24, v5
	v_cmp_le_u32_e32 vcc, s24, v5
	s_nop 1
	v_cndmask_b32_e32 v5, v5, v10, vcc
	v_cndmask_b32_e32 v1, v1, v7, vcc
	v_add_u32_e32 v7, 1, v1
	v_cmp_le_u32_e32 vcc, s24, v5
	s_nop 1
	v_cndmask_b32_e32 v22, v1, v7, vcc
.LBB0_6:                                ;   in Loop: Header=BB0_2 Depth=1
	s_or_b64 exec, exec, s[2:3]
	v_mad_u64_u32 v[10:11], s[2:3], v22, s24, 0
	s_load_dwordx2 s[2:3], s[18:19], 0x0
	s_add_u32 s22, s22, 1
	v_mul_lo_u32 v1, v23, s24
	v_mul_lo_u32 v5, v22, s25
	s_load_dwordx2 s[24:25], s[16:17], 0x0
	s_addc_u32 s23, s23, 0
	v_add3_u32 v1, v11, v5, v1
	v_sub_co_u32_e32 v5, vcc, v8, v10
	s_add_u32 s16, s16, 8
	s_nop 0
	v_subb_co_u32_e32 v1, vcc, v9, v1, vcc
	s_addc_u32 s17, s17, 0
	s_waitcnt lgkmcnt(0)
	v_mul_lo_u32 v7, s2, v1
	v_mul_lo_u32 v8, s3, v5
	v_mad_u64_u32 v[2:3], s[2:3], s2, v5, v[2:3]
	s_add_u32 s18, s18, 8
	v_add3_u32 v3, v8, v3, v7
	s_addc_u32 s19, s19, 0
	v_mov_b64_e32 v[8:9], s[10:11]
	v_mul_lo_u32 v1, s24, v1
	v_mul_lo_u32 v7, s25, v5
	v_mad_u64_u32 v[20:21], s[2:3], s24, v5, v[20:21]
	s_add_u32 s20, s20, 8
	v_cmp_ge_u64_e32 vcc, s[22:23], v[8:9]
	v_add3_u32 v21, v7, v21, v1
	s_addc_u32 s21, s21, 0
	s_cbranch_vccnz .LBB0_8
; %bb.7:                                ;   in Loop: Header=BB0_2 Depth=1
	v_mov_b64_e32 v[8:9], v[22:23]
	s_branch .LBB0_2
.LBB0_8:
	s_lshl_b64 s[16:17], s[10:11], 3
	s_mov_b32 s10, 0x24924925
	v_mul_hi_u32 v1, v4, s10
	s_load_dwordx2 s[0:1], s[0:1], 0x28
	v_sub_u32_e32 v5, v4, v1
	v_lshrrev_b32_e32 v5, 1, v5
	v_add_u32_e32 v1, v5, v1
	v_lshrrev_b32_e32 v1, 2, v1
	s_add_u32 s2, s14, s16
	v_mul_lo_u32 v1, v1, 7
	s_addc_u32 s3, s15, s17
	v_sub_u32_e32 v1, v4, v1
	s_waitcnt lgkmcnt(0)
	v_cmp_gt_u64_e32 vcc, s[0:1], v[22:23]
	v_cmp_le_u64_e64 s[0:1], s[0:1], v[22:23]
                                        ; implicit-def: $vgpr24
	s_and_saveexec_b64 s[10:11], s[0:1]
	s_xor_b64 s[0:1], exec, s[10:11]
; %bb.9:
	s_mov_b32 s10, 0x7c1f07d
	v_mul_hi_u32 v2, v0, s10
	v_mul_u32_u24_e32 v2, 33, v2
	v_sub_u32_e32 v24, v0, v2
                                        ; implicit-def: $vgpr0
                                        ; implicit-def: $vgpr2_vgpr3
; %bb.10:
	s_or_saveexec_b64 s[10:11], s[0:1]
	s_load_dwordx2 s[2:3], s[2:3], 0x0
	v_mul_u32_u24_e32 v4, 0x109, v1
	v_lshlrev_b32_e32 v32, 3, v4
	s_xor_b64 exec, exec, s[10:11]
	s_cbranch_execz .LBB0_14
; %bb.11:
	s_add_u32 s0, s12, s16
	s_addc_u32 s1, s13, s17
	s_load_dwordx2 s[0:1], s[0:1], 0x0
	s_mov_b32 s12, 0x7c1f07d
	s_waitcnt lgkmcnt(0)
	v_mul_lo_u32 v1, s1, v22
	v_mul_lo_u32 v5, s0, v23
	v_mad_u64_u32 v[6:7], s[0:1], s0, v22, 0
	v_add3_u32 v7, v7, v5, v1
	v_mul_hi_u32 v1, v0, s12
	v_mul_u32_u24_e32 v1, 33, v1
	v_sub_u32_e32 v24, v0, v1
	v_lshl_add_u64 v[0:1], v[6:7], 3, s[4:5]
	v_lshl_add_u64 v[0:1], v[2:3], 3, v[0:1]
	v_lshlrev_b32_e32 v2, 3, v24
	v_mov_b32_e32 v3, 0
	v_lshl_add_u64 v[6:7], v[0:1], 0, v[2:3]
	global_load_dwordx2 v[8:9], v[6:7], off
	global_load_dwordx2 v[10:11], v[6:7], off offset:264
	global_load_dwordx2 v[12:13], v[6:7], off offset:528
	;; [unrolled: 1-line block ×7, first 2 shown]
	v_add3_u32 v2, 0, v32, v2
	v_cmp_eq_u32_e64 s[0:1], 32, v24
	s_waitcnt vmcnt(6)
	ds_write2_b64 v2, v[8:9], v[10:11] offset1:33
	s_waitcnt vmcnt(4)
	ds_write2_b64 v2, v[12:13], v[14:15] offset0:66 offset1:99
	s_waitcnt vmcnt(2)
	ds_write2_b64 v2, v[16:17], v[18:19] offset0:132 offset1:165
	;; [unrolled: 2-line block ×3, first 2 shown]
	s_and_saveexec_b64 s[4:5], s[0:1]
	s_cbranch_execz .LBB0_13
; %bb.12:
	global_load_dwordx2 v[0:1], v[0:1], off offset:2112
	v_mov_b32_e32 v24, 32
	s_waitcnt vmcnt(0)
	ds_write_b64 v2, v[0:1] offset:1856
.LBB0_13:
	s_or_b64 exec, exec, s[4:5]
.LBB0_14:
	s_or_b64 exec, exec, s[10:11]
	v_lshl_add_u32 v30, v4, 3, 0
	v_lshlrev_b32_e32 v5, 3, v24
	v_add_u32_e32 v31, v30, v5
	s_waitcnt lgkmcnt(0)
	s_barrier
	v_sub_u32_e32 v4, v30, v5
	ds_read_b32 v1, v31
	ds_read_b32 v2, v4 offset:2112
	v_cmp_ne_u32_e64 s[0:1], 0, v24
	s_waitcnt lgkmcnt(0)
	v_add_f32_e32 v0, v2, v1
	v_sub_f32_e32 v1, v1, v2
                                        ; implicit-def: $vgpr2_vgpr3
	s_and_saveexec_b64 s[4:5], s[0:1]
	s_xor_b64 s[0:1], exec, s[4:5]
	s_cbranch_execz .LBB0_16
; %bb.15:
	v_mov_b32_e32 v25, 0
	v_lshl_add_u64 v[2:3], v[24:25], 3, s[8:9]
	global_load_dwordx2 v[2:3], v[2:3], off offset:2048
	ds_read_b32 v9, v4 offset:2116
	ds_read_b32 v10, v31 offset:4
	v_mov_b32_e32 v8, v1
	v_mov_b32_e32 v7, v1
	s_waitcnt lgkmcnt(0)
	v_add_f32_e32 v6, v9, v10
	v_sub_f32_e32 v14, v10, v9
	v_mov_b32_e32 v9, v6
	v_mov_b32_e32 v1, v14
	s_waitcnt vmcnt(0)
	v_pk_mul_f32 v[10:11], v[8:9], v[2:3] op_sel:[0,1]
	v_pk_fma_f32 v[8:9], v[8:9], v[2:3], v[0:1] op_sel:[0,1,0]
	v_mov_b32_e32 v1, v11
	v_mov_b32_e32 v11, v14
	v_pk_fma_f32 v[12:13], v[2:3], v[6:7], v[8:9] neg_lo:[1,0,0] neg_hi:[1,0,0]
	v_pk_fma_f32 v[8:9], v[2:3], v[6:7], v[8:9] op_sel_hi:[0,1,1]
	v_pk_add_f32 v[0:1], v[0:1], v[10:11] neg_lo:[0,1] neg_hi:[0,1]
	v_mov_b32_e32 v13, v9
	v_pk_fma_f32 v[0:1], v[2:3], v[6:7], v[0:1] op_sel_hi:[0,1,1]
	ds_write_b64 v31, v[12:13]
	ds_write_b64 v4, v[0:1] offset:2112
	v_mov_b64_e32 v[2:3], v[24:25]
                                        ; implicit-def: $vgpr0
.LBB0_16:
	s_andn2_saveexec_b64 s[0:1], s[0:1]
	s_cbranch_execz .LBB0_18
; %bb.17:
	ds_write_b64 v31, v[0:1]
	ds_read_b64 v[0:1], v30 offset:1056
	s_mov_b32 s4, 2.0
	s_mov_b32 s5, -2.0
	v_mov_b64_e32 v[2:3], 0
	s_waitcnt lgkmcnt(0)
	v_pk_mul_f32 v[0:1], v[0:1], s[4:5]
	ds_write_b64 v30, v[0:1] offset:1056
.LBB0_18:
	s_or_b64 exec, exec, s[0:1]
	s_add_u32 s0, s8, 0x800
	s_addc_u32 s1, s9, 0
	v_lshl_add_u64 v[0:1], v[2:3], 3, s[0:1]
	global_load_dwordx2 v[2:3], v[0:1], off offset:264
	global_load_dwordx2 v[6:7], v[0:1], off offset:528
	;; [unrolled: 1-line block ×3, first 2 shown]
	ds_read_b64 v[0:1], v4 offset:1848
	ds_read_b64 v[10:11], v31 offset:264
	v_add3_u32 v25, 0, v5, v32
	s_mov_b32 s0, 0x3f3504f3
	v_mad_u32_u24 v33, v24, 56, v25
	s_waitcnt lgkmcnt(0)
	v_pk_add_f32 v[12:13], v[10:11], v[0:1]
	v_pk_add_f32 v[0:1], v[10:11], v[0:1] neg_lo:[0,1] neg_hi:[0,1]
	v_mov_b32_e32 v10, v13
	v_mov_b32_e32 v11, v0
	v_mov_b32_e32 v13, v1
	s_waitcnt vmcnt(2)
	v_pk_mul_f32 v[14:15], v[10:11], v[2:3] op_sel:[0,1]
	s_nop 0
	v_pk_add_f32 v[16:17], v[12:13], v[14:15] op_sel:[0,1] op_sel_hi:[1,0]
	v_mov_b32_e32 v13, v14
	v_mov_b32_e32 v0, v15
	v_pk_fma_f32 v[14:15], v[2:3], v[10:11], v[16:17] neg_lo:[1,0,0] neg_hi:[1,0,0]
	v_pk_fma_f32 v[16:17], v[2:3], v[10:11], v[16:17] op_sel_hi:[0,1,1]
	v_pk_add_f32 v[0:1], v[12:13], v[0:1] neg_lo:[0,1] neg_hi:[0,1]
	v_mov_b32_e32 v15, v17
	v_pk_fma_f32 v[0:1], v[2:3], v[10:11], v[0:1] op_sel_hi:[0,1,1]
	ds_write_b64 v31, v[14:15] offset:264
	ds_write_b64 v4, v[0:1] offset:1848
	ds_read_b64 v[0:1], v4 offset:1584
	ds_read_b64 v[2:3], v31 offset:528
	s_waitcnt lgkmcnt(0)
	v_pk_add_f32 v[10:11], v[2:3], v[0:1]
	v_pk_add_f32 v[0:1], v[2:3], v[0:1] neg_lo:[0,1] neg_hi:[0,1]
	v_mov_b32_e32 v2, v11
	v_mov_b32_e32 v3, v0
	;; [unrolled: 1-line block ×3, first 2 shown]
	s_waitcnt vmcnt(1)
	v_pk_mul_f32 v[12:13], v[2:3], v[6:7] op_sel:[0,1]
	s_nop 0
	v_pk_add_f32 v[14:15], v[10:11], v[12:13] op_sel:[0,1] op_sel_hi:[1,0]
	v_mov_b32_e32 v11, v12
	v_mov_b32_e32 v0, v13
	v_pk_fma_f32 v[12:13], v[6:7], v[2:3], v[14:15] neg_lo:[1,0,0] neg_hi:[1,0,0]
	v_pk_fma_f32 v[14:15], v[6:7], v[2:3], v[14:15] op_sel_hi:[0,1,1]
	v_pk_add_f32 v[0:1], v[10:11], v[0:1] neg_lo:[0,1] neg_hi:[0,1]
	v_mov_b32_e32 v13, v15
	v_pk_fma_f32 v[0:1], v[6:7], v[2:3], v[0:1] op_sel_hi:[0,1,1]
	ds_write_b64 v31, v[12:13] offset:528
	ds_write_b64 v4, v[0:1] offset:1584
	ds_read_b64 v[0:1], v4 offset:1320
	ds_read_b64 v[2:3], v31 offset:792
	s_waitcnt lgkmcnt(0)
	v_pk_add_f32 v[6:7], v[2:3], v[0:1]
	v_pk_add_f32 v[0:1], v[2:3], v[0:1] neg_lo:[0,1] neg_hi:[0,1]
	v_mov_b32_e32 v2, v7
	v_mov_b32_e32 v3, v0
	;; [unrolled: 1-line block ×3, first 2 shown]
	s_waitcnt vmcnt(0)
	v_pk_mul_f32 v[10:11], v[2:3], v[8:9] op_sel:[0,1]
	s_nop 0
	v_pk_add_f32 v[12:13], v[6:7], v[10:11] op_sel:[0,1] op_sel_hi:[1,0]
	v_mov_b32_e32 v7, v10
	v_mov_b32_e32 v0, v11
	v_pk_fma_f32 v[10:11], v[8:9], v[2:3], v[12:13] neg_lo:[1,0,0] neg_hi:[1,0,0]
	v_pk_fma_f32 v[12:13], v[8:9], v[2:3], v[12:13] op_sel_hi:[0,1,1]
	v_pk_add_f32 v[0:1], v[6:7], v[0:1] neg_lo:[0,1] neg_hi:[0,1]
	v_mov_b32_e32 v11, v13
	v_pk_fma_f32 v[0:1], v[8:9], v[2:3], v[0:1] op_sel_hi:[0,1,1]
	ds_write_b64 v31, v[10:11] offset:792
	ds_write_b64 v4, v[0:1] offset:1320
	s_waitcnt lgkmcnt(0)
	s_barrier
	s_barrier
	ds_read2_b64 v[0:3], v25 offset0:33 offset1:66
	ds_read2_b64 v[4:7], v25 offset0:99 offset1:132
	;; [unrolled: 1-line block ×3, first 2 shown]
	ds_read_b64 v[12:13], v31
	ds_read_b64 v[14:15], v25 offset:1848
	s_waitcnt lgkmcnt(0)
	s_barrier
	v_pk_add_f32 v[8:9], v[0:1], v[8:9] neg_lo:[0,1] neg_hi:[0,1]
	v_pk_add_f32 v[6:7], v[12:13], v[6:7] neg_lo:[0,1] neg_hi:[0,1]
	v_pk_add_f32 v[14:15], v[4:5], v[14:15] neg_lo:[0,1] neg_hi:[0,1]
	v_pk_add_f32 v[10:11], v[2:3], v[10:11] neg_lo:[0,1] neg_hi:[0,1]
	v_pk_fma_f32 v[16:17], v[12:13], 2.0, v[6:7] op_sel_hi:[1,0,1] neg_lo:[0,0,1] neg_hi:[0,0,1]
	v_pk_add_f32 v[18:19], v[8:9], v[14:15] op_sel:[1,0] op_sel_hi:[0,1] neg_lo:[0,1] neg_hi:[0,1]
	v_pk_add_f32 v[12:13], v[8:9], v[14:15] op_sel:[1,0] op_sel_hi:[0,1]
	v_pk_fma_f32 v[2:3], v[2:3], 2.0, v[10:11] op_sel_hi:[1,0,1] neg_lo:[0,0,1] neg_hi:[0,0,1]
	v_pk_fma_f32 v[0:1], v[0:1], 2.0, v[8:9] op_sel_hi:[1,0,1] neg_lo:[0,0,1] neg_hi:[0,0,1]
	;; [unrolled: 1-line block ×3, first 2 shown]
	v_pk_add_f32 v[14:15], v[6:7], v[10:11] op_sel:[0,1] op_sel_hi:[1,0]
	v_pk_add_f32 v[10:11], v[6:7], v[10:11] op_sel:[0,1] op_sel_hi:[1,0] neg_lo:[0,1] neg_hi:[0,1]
	v_mov_b32_e32 v19, v13
	v_pk_add_f32 v[2:3], v[16:17], v[2:3] neg_lo:[0,1] neg_hi:[0,1]
	v_pk_add_f32 v[26:27], v[0:1], v[4:5] neg_lo:[0,1] neg_hi:[0,1]
	v_mov_b32_e32 v15, v11
	v_pk_fma_f32 v[8:9], v[8:9], 2.0, v[18:19] op_sel:[1,0,0] op_sel_hi:[0,0,1] neg_lo:[0,0,1] neg_hi:[0,0,1]
	v_pk_add_f32 v[12:13], v[2:3], v[26:27] op_sel:[0,1] op_sel_hi:[1,0]
	v_pk_add_f32 v[4:5], v[2:3], v[26:27] op_sel:[0,1] op_sel_hi:[1,0] neg_lo:[0,1] neg_hi:[0,1]
	v_pk_mul_f32 v[10:11], v[18:19], s[0:1] op_sel_hi:[1,0]
	v_pk_fma_f32 v[16:17], v[16:17], 2.0, v[2:3] op_sel_hi:[1,0,1] neg_lo:[0,0,1] neg_hi:[0,0,1]
	v_pk_fma_f32 v[0:1], v[0:1], 2.0, v[26:27] op_sel_hi:[1,0,1] neg_lo:[0,0,1] neg_hi:[0,0,1]
	;; [unrolled: 1-line block ×3, first 2 shown]
	v_pk_mul_f32 v[6:7], v[8:9], s[0:1] op_sel_hi:[1,0]
	v_pk_add_f32 v[0:1], v[16:17], v[0:1] neg_lo:[0,1] neg_hi:[0,1]
	v_pk_add_f32 v[10:11], v[14:15], v[10:11] op_sel:[0,1] op_sel_hi:[1,0]
	v_pk_add_f32 v[34:35], v[26:27], v[6:7] op_sel:[0,1] op_sel_hi:[1,0] neg_lo:[0,1] neg_hi:[0,1]
	v_pk_fma_f32 v[28:29], v[16:17], 2.0, v[0:1] op_sel_hi:[1,0,1] neg_lo:[0,0,1] neg_hi:[0,0,1]
	v_pk_fma_f32 v[16:17], v[18:19], s[0:1], v[10:11] op_sel_hi:[1,0,1]
	v_pk_fma_f32 v[6:7], v[18:19], s[0:1], v[10:11] op_sel_hi:[1,0,1] neg_lo:[1,0,0] neg_hi:[1,0,0]
	v_pk_fma_f32 v[10:11], v[8:9], s[0:1], v[34:35] op_sel_hi:[1,0,1]
	v_pk_fma_f32 v[8:9], v[8:9], s[0:1], v[34:35] op_sel_hi:[1,0,1] neg_lo:[1,0,0] neg_hi:[1,0,0]
	v_mov_b32_e32 v13, v5
	v_mov_b32_e32 v17, v7
	;; [unrolled: 1-line block ×3, first 2 shown]
	v_pk_fma_f32 v[2:3], v[2:3], 2.0, v[12:13] op_sel_hi:[1,0,1] neg_lo:[0,0,1] neg_hi:[0,0,1]
	v_pk_fma_f32 v[14:15], v[14:15], 2.0, v[16:17] op_sel_hi:[1,0,1] neg_lo:[0,0,1] neg_hi:[0,0,1]
	;; [unrolled: 1-line block ×3, first 2 shown]
	ds_write2_b64 v33, v[2:3], v[14:15] offset0:2 offset1:3
	ds_write2_b64 v33, v[12:13], v[16:17] offset0:6 offset1:7
	ds_write2_b64 v33, v[28:29], v[18:19] offset1:1
	ds_write2_b64 v33, v[0:1], v[10:11] offset0:4 offset1:5
	s_waitcnt lgkmcnt(0)
	s_barrier
	ds_read_b64 v[14:15], v31
	ds_read_b64 v[18:19], v25 offset:1672
	s_waitcnt lgkmcnt(1)
	ds_read_b32 v15, v31 offset:4
	ds_read2_b64 v[0:3], v25 offset0:33 offset1:88
	ds_read2_b64 v[8:11], v25 offset0:121 offset1:176
	v_cmp_gt_u32_e64 s[0:1], 22, v24
                                        ; implicit-def: $vgpr28
                                        ; implicit-def: $vgpr26
	s_and_saveexec_b64 s[4:5], s[0:1]
	s_cbranch_execz .LBB0_20
; %bb.19:
	ds_read_b64 v[26:27], v25 offset:1936
	ds_read2_b64 v[4:7], v25 offset0:66 offset1:154
	s_waitcnt lgkmcnt(1)
	v_mov_b32_e32 v28, v27
	s_waitcnt lgkmcnt(0)
	v_mov_b32_e32 v16, v6
	v_mov_b32_e32 v12, v4
.LBB0_20:
	s_or_b64 exec, exec, s[4:5]
	v_add_u32_e32 v4, 0x42, v24
	v_add_u32_e32 v27, 33, v24
	v_and_b32_e32 v17, 7, v4
	v_and_b32_e32 v33, 7, v27
	v_lshlrev_b32_e32 v6, 4, v17
	v_and_b32_e32 v29, 7, v24
	global_load_dwordx4 v[34:37], v6, s[8:9]
	v_lshlrev_b32_e32 v6, 4, v33
	global_load_dwordx4 v[38:41], v6, s[8:9]
	v_lshlrev_b32_e32 v6, 4, v29
	global_load_dwordx4 v[42:45], v6, s[8:9]
	v_mov_b32_e32 v6, v7
	v_lshrrev_b32_e32 v7, 3, v27
	v_mul_u32_u24_e32 v7, 24, v7
	v_mov_b32_e32 v13, v5
	v_lshrrev_b32_e32 v5, 3, v24
	v_or_b32_e32 v7, v7, v33
	v_mul_u32_u24_e32 v5, 24, v5
	v_lshlrev_b32_e32 v7, 3, v7
	v_or_b32_e32 v5, v5, v29
	v_add3_u32 v33, 0, v7, v32
	s_mov_b32 s4, 0x3f5db3d7
	v_lshlrev_b32_e32 v5, 3, v5
	v_add3_u32 v5, 0, v5, v32
	s_waitcnt lgkmcnt(0)
	s_barrier
	s_waitcnt vmcnt(2)
	v_pk_mul_f32 v[6:7], v[6:7], v[34:35] op_sel_hi:[0,1]
	v_pk_mul_f32 v[28:29], v[28:29], v[36:37] op_sel_hi:[0,1]
	s_waitcnt vmcnt(1)
	v_pk_mul_f32 v[46:47], v[38:39], v[8:9] op_sel:[0,1]
	v_pk_mul_f32 v[48:49], v[40:41], v[18:19] op_sel:[0,1]
	s_waitcnt vmcnt(0)
	v_pk_mul_f32 v[50:51], v[42:43], v[2:3] op_sel:[0,1]
	v_pk_mul_f32 v[52:53], v[44:45], v[10:11] op_sel:[0,1]
	v_pk_fma_f32 v[54:55], v[16:17], v[34:35], v[6:7] op_sel:[0,0,1] op_sel_hi:[1,1,0]
	v_pk_fma_f32 v[6:7], v[16:17], v[34:35], v[6:7] op_sel:[0,0,1] op_sel_hi:[0,1,0] neg_lo:[1,0,0] neg_hi:[1,0,0]
	v_pk_fma_f32 v[34:35], v[26:27], v[36:37], v[28:29] op_sel:[0,0,1] op_sel_hi:[1,1,0]
	v_pk_fma_f32 v[26:27], v[26:27], v[36:37], v[28:29] op_sel:[0,0,1] op_sel_hi:[0,1,0] neg_lo:[1,0,0] neg_hi:[1,0,0]
	;; [unrolled: 2-line block ×6, first 2 shown]
	v_mov_b32_e32 v55, v7
	v_mov_b32_e32 v35, v27
	;; [unrolled: 1-line block ×6, first 2 shown]
	v_pk_add_f32 v[6:7], v[54:55], v[34:35]
	v_pk_add_f32 v[8:9], v[54:55], v[34:35] neg_lo:[0,1] neg_hi:[0,1]
	v_pk_add_f32 v[10:11], v[0:1], v[28:29]
	v_pk_add_f32 v[18:19], v[38:39], v[14:15]
	;; [unrolled: 1-line block ×3, first 2 shown]
	v_pk_add_f32 v[38:39], v[38:39], v[40:41] neg_lo:[0,1] neg_hi:[0,1]
	v_pk_add_f32 v[2:3], v[12:13], v[54:55]
	v_pk_add_f32 v[44:45], v[28:29], v[36:37]
	v_pk_add_f32 v[28:29], v[28:29], v[36:37] neg_lo:[0,1] neg_hi:[0,1]
	v_pk_fma_f32 v[6:7], v[6:7], 0.5, v[12:13] op_sel_hi:[1,0,1] neg_lo:[1,0,0] neg_hi:[1,0,0]
	v_pk_mul_f32 v[12:13], v[8:9], s[4:5] op_sel_hi:[1,0]
	v_pk_add_f32 v[8:9], v[10:11], v[36:37]
	v_pk_add_f32 v[26:27], v[18:19], v[40:41]
	v_pk_fma_f32 v[10:11], v[42:43], 0.5, v[14:15] op_sel_hi:[1,0,1] neg_lo:[1,0,0] neg_hi:[1,0,0]
	v_pk_mul_f32 v[18:19], v[38:39], s[4:5] op_sel_hi:[1,0]
	v_pk_add_f32 v[2:3], v[2:3], v[34:35]
	v_pk_fma_f32 v[34:35], v[44:45], 0.5, v[0:1] op_sel_hi:[1,0,1] neg_lo:[1,0,0] neg_hi:[1,0,0]
	v_pk_mul_f32 v[36:37], v[28:29], s[4:5] op_sel_hi:[1,0]
	v_pk_add_f32 v[14:15], v[6:7], v[12:13] op_sel:[0,1] op_sel_hi:[1,0] neg_lo:[0,1] neg_hi:[0,1]
	v_pk_add_f32 v[28:29], v[6:7], v[12:13] op_sel:[0,1] op_sel_hi:[1,0]
	v_pk_add_f32 v[6:7], v[10:11], v[18:19] op_sel:[0,1] op_sel_hi:[1,0] neg_lo:[0,1] neg_hi:[0,1]
	v_pk_add_f32 v[10:11], v[10:11], v[18:19] op_sel:[0,1] op_sel_hi:[1,0]
	;; [unrolled: 2-line block ×3, first 2 shown]
	v_mov_b32_e32 v18, v6
	v_mov_b32_e32 v19, v11
	;; [unrolled: 1-line block ×8, first 2 shown]
	ds_write2_b64 v5, v[26:27], v[18:19] offset1:8
	ds_write_b64 v5, v[34:35] offset:128
	ds_write2_b64 v33, v[8:9], v[36:37] offset1:8
	ds_write_b64 v33, v[38:39] offset:128
	s_and_saveexec_b64 s[4:5], s[0:1]
	s_cbranch_execz .LBB0_22
; %bb.21:
	v_lshrrev_b32_e32 v4, 3, v4
	v_mul_u32_u24_e32 v4, 24, v4
	v_or_b32_e32 v4, v4, v17
	v_lshlrev_b32_e32 v4, 3, v4
	v_add3_u32 v16, 0, v4, v32
	v_mov_b32_e32 v4, v14
	v_mov_b32_e32 v5, v29
	ds_write2_b64 v16, v[2:3], v[4:5] offset1:8
	v_mov_b32_e32 v4, v28
	v_mov_b32_e32 v5, v15
	ds_write_b64 v16, v[4:5] offset:128
.LBB0_22:
	s_or_b64 exec, exec, s[4:5]
	v_cmp_gt_u32_e64 s[0:1], 24, v24
	s_waitcnt lgkmcnt(0)
	s_barrier
	s_waitcnt lgkmcnt(0)
                                        ; implicit-def: $vgpr19
	s_and_saveexec_b64 s[4:5], s[0:1]
	s_cbranch_execz .LBB0_24
; %bb.23:
	ds_read_b64 v[26:27], v31
	ds_read2_b64 v[12:15], v25 offset0:168 offset1:192
	ds_read2_b64 v[4:7], v25 offset0:24 offset1:48
	;; [unrolled: 1-line block ×5, first 2 shown]
	s_waitcnt lgkmcnt(4)
	v_mov_b32_e32 v28, v14
	v_mov_b32_e32 v29, v13
	;; [unrolled: 1-line block ×3, first 2 shown]
	s_waitcnt lgkmcnt(1)
	v_mov_b32_e32 v12, v0
	v_mov_b32_e32 v13, v11
	;; [unrolled: 1-line block ×6, first 2 shown]
.LBB0_24:
	s_or_b64 exec, exec, s[4:5]
	s_waitcnt lgkmcnt(0)
	s_barrier
	s_and_saveexec_b64 s[4:5], s[0:1]
	s_cbranch_execz .LBB0_26
; %bb.25:
	v_subrev_u32_e32 v4, 24, v24
	v_cndmask_b32_e64 v4, v4, v24, s[0:1]
	v_mul_i32_i24_e32 v4, 10, v4
	v_mov_b32_e32 v5, 0
	v_lshl_add_u64 v[4:5], v[4:5], 3, s[8:9]
	global_load_dwordx4 v[32:35], v[4:5], off offset:192
	global_load_dwordx4 v[36:39], v[4:5], off offset:176
	;; [unrolled: 1-line block ×5, first 2 shown]
	v_mov_b32_e32 v4, v19
	v_mov_b32_e32 v52, v17
	;; [unrolled: 1-line block ×10, first 2 shown]
	s_mov_b32 s18, 0xbf0a6770
	s_mov_b32 s10, 0x3f575c64
	;; [unrolled: 1-line block ×12, first 2 shown]
	s_waitcnt vmcnt(4)
	v_pk_mul_f32 v[4:5], v[4:5], v[34:35] op_sel_hi:[0,1]
	v_pk_mul_f32 v[52:53], v[52:53], v[32:33] op_sel_hi:[0,1]
	s_waitcnt vmcnt(3)
	v_pk_mul_f32 v[58:59], v[58:59], v[36:37] op_sel_hi:[0,1]
	s_waitcnt vmcnt(2)
	;; [unrolled: 2-line block ×3, first 2 shown]
	v_pk_mul_f32 v[54:55], v[54:55], v[44:45] op_sel_hi:[0,1]
	v_pk_mul_f32 v[56:57], v[56:57], v[46:47] op_sel_hi:[0,1]
	s_waitcnt vmcnt(0)
	v_pk_mul_f32 v[66:67], v[66:67], v[48:49] op_sel_hi:[0,1]
	v_pk_mul_f32 v[60:61], v[60:61], v[38:39] op_sel_hi:[0,1]
	v_pk_fma_f32 v[70:71], v[18:19], v[34:35], v[4:5] op_sel:[0,0,1] op_sel_hi:[1,1,0]
	v_pk_fma_f32 v[4:5], v[18:19], v[34:35], v[4:5] op_sel:[0,0,1] op_sel_hi:[0,1,0] neg_lo:[1,0,0] neg_hi:[1,0,0]
	v_pk_fma_f32 v[18:19], v[16:17], v[32:33], v[52:53] op_sel:[0,0,1] op_sel_hi:[1,1,0]
	v_pk_fma_f32 v[16:17], v[16:17], v[32:33], v[52:53] op_sel:[0,0,1] op_sel_hi:[0,1,0] neg_lo:[1,0,0] neg_hi:[1,0,0]
	;; [unrolled: 2-line block ×7, first 2 shown]
	v_pk_mul_f32 v[64:65], v[64:65], v[42:43] op_sel_hi:[0,1]
	v_pk_fma_f32 v[34:35], v[28:29], v[38:39], v[60:61] op_sel:[0,0,1] op_sel_hi:[1,1,0]
	v_pk_fma_f32 v[28:29], v[28:29], v[38:39], v[60:61] op_sel:[0,0,1] op_sel_hi:[0,1,0] neg_lo:[1,0,0] neg_hi:[1,0,0]
	v_mov_b32_e32 v71, v5
	v_mov_b32_e32 v49, v7
	v_pk_mul_f32 v[68:69], v[68:69], v[50:51] op_sel_hi:[0,1]
	v_pk_fma_f32 v[38:39], v[0:1], v[42:43], v[64:65] op_sel:[0,0,1] op_sel_hi:[1,1,0]
	v_pk_fma_f32 v[0:1], v[0:1], v[42:43], v[64:65] op_sel:[0,0,1] op_sel_hi:[0,1,0] neg_lo:[1,0,0] neg_hi:[1,0,0]
	v_mov_b32_e32 v19, v17
	v_mov_b32_e32 v41, v11
	;; [unrolled: 1-line block ×5, first 2 shown]
	v_pk_add_f32 v[12:13], v[48:49], v[70:71] neg_lo:[0,1] neg_hi:[0,1]
	v_pk_fma_f32 v[42:43], v[2:3], v[50:51], v[68:69] op_sel:[0,0,1] op_sel_hi:[1,1,0]
	v_pk_fma_f32 v[2:3], v[2:3], v[50:51], v[68:69] op_sel:[0,0,1] op_sel_hi:[0,1,0] neg_lo:[1,0,0] neg_hi:[1,0,0]
	v_mov_b32_e32 v33, v15
	v_mov_b32_e32 v39, v1
	v_pk_add_f32 v[14:15], v[48:49], v[70:71]
	v_pk_add_f32 v[16:17], v[40:41], v[18:19] neg_lo:[0,1] neg_hi:[0,1]
	v_pk_add_f32 v[44:45], v[36:37], v[34:35] neg_lo:[0,1] neg_hi:[0,1]
	v_pk_mul_f32 v[0:1], v[12:13], s[18:19] op_sel_hi:[1,0]
	v_mov_b32_e32 v43, v3
	v_pk_add_f32 v[28:29], v[40:41], v[18:19]
	v_pk_add_f32 v[50:51], v[36:37], v[34:35]
	v_pk_mul_f32 v[2:3], v[16:17], s[24:25] op_sel_hi:[1,0]
	v_pk_mul_f32 v[56:57], v[44:45], s[12:13] op_sel_hi:[1,0]
	v_pk_fma_f32 v[8:9], v[14:15], s[10:11], v[0:1] op_sel:[0,0,1] op_sel_hi:[1,0,0]
	v_pk_fma_f32 v[10:11], v[14:15], s[10:11], v[0:1] op_sel:[0,0,1] op_sel_hi:[1,0,0] neg_lo:[0,0,1] neg_hi:[0,0,1]
	v_pk_fma_f32 v[4:5], v[28:29], s[0:1], v[2:3] op_sel:[0,0,1] op_sel_hi:[1,0,0]
	v_pk_fma_f32 v[6:7], v[28:29], s[0:1], v[2:3] op_sel:[0,0,1] op_sel_hi:[1,0,0] neg_lo:[0,0,1] neg_hi:[0,0,1]
	;; [unrolled: 2-line block ×3, first 2 shown]
	v_mov_b32_e32 v56, v8
	v_mov_b32_e32 v57, v11
	v_pk_add_f32 v[52:53], v[38:39], v[32:33] neg_lo:[0,1] neg_hi:[0,1]
	v_mov_b32_e32 v58, v4
	v_mov_b32_e32 v59, v7
	v_pk_add_f32 v[56:57], v[26:27], v[56:57]
	v_pk_add_f32 v[54:55], v[38:39], v[32:33]
	v_mov_b32_e32 v60, v0
	v_mov_b32_e32 v61, v3
	v_pk_add_f32 v[56:57], v[58:59], v[56:57]
	v_pk_mul_f32 v[58:59], v[52:53], s[16:17] op_sel_hi:[1,0]
	v_pk_add_f32 v[56:57], v[60:61], v[56:57]
	v_pk_fma_f32 v[60:61], v[54:55], s[14:15], v[58:59] op_sel:[0,0,1] op_sel_hi:[1,0,0]
	v_pk_fma_f32 v[58:59], v[54:55], s[14:15], v[58:59] op_sel:[0,0,1] op_sel_hi:[1,0,0] neg_lo:[0,0,1] neg_hi:[0,0,1]
	v_mov_b32_e32 v62, v60
	v_mov_b32_e32 v63, v59
	v_pk_add_f32 v[56:57], v[62:63], v[56:57]
	v_pk_add_f32 v[62:63], v[46:47], v[42:43] neg_lo:[0,1] neg_hi:[0,1]
	v_pk_add_f32 v[64:65], v[46:47], v[42:43]
	v_pk_mul_f32 v[66:67], v[62:63], s[22:23] op_sel_hi:[1,0]
	v_pk_mul_f32 v[78:79], v[16:17], s[16:17] op_sel_hi:[1,0]
	v_pk_fma_f32 v[68:69], v[64:65], s[20:21], v[66:67] op_sel:[0,0,1] op_sel_hi:[1,0,0]
	v_pk_fma_f32 v[66:67], v[64:65], s[20:21], v[66:67] op_sel:[0,0,1] op_sel_hi:[1,0,0] neg_lo:[0,0,1] neg_hi:[0,0,1]
	v_mov_b32_e32 v72, v68
	v_mov_b32_e32 v73, v67
	v_pk_add_f32 v[56:57], v[72:73], v[56:57]
	v_pk_mul_f32 v[72:73], v[12:13], s[24:25] op_sel_hi:[1,0]
	v_pk_fma_f32 v[80:81], v[28:29], s[14:15], v[78:79] op_sel:[0,0,1] op_sel_hi:[1,0,0]
	v_pk_fma_f32 v[74:75], v[14:15], s[0:1], v[72:73] op_sel:[0,0,1] op_sel_hi:[1,0,0]
	v_pk_fma_f32 v[72:73], v[14:15], s[0:1], v[72:73] op_sel:[0,0,1] op_sel_hi:[1,0,0] neg_lo:[0,0,1] neg_hi:[0,0,1]
	v_mov_b32_e32 v76, v74
	v_mov_b32_e32 v77, v73
	v_pk_fma_f32 v[78:79], v[28:29], s[14:15], v[78:79] op_sel:[0,0,1] op_sel_hi:[1,0,0] neg_lo:[0,0,1] neg_hi:[0,0,1]
	v_pk_add_f32 v[76:77], v[26:27], v[76:77]
	v_mov_b32_e32 v82, v80
	v_mov_b32_e32 v83, v79
	s_mov_b32 s24, 0x3e903f40
	v_pk_add_f32 v[76:77], v[82:83], v[76:77]
	v_pk_mul_f32 v[82:83], v[44:45], s[24:25] op_sel_hi:[1,0]
	v_pk_mul_f32 v[96:97], v[16:17], s[24:25] op_sel_hi:[1,0]
	v_pk_fma_f32 v[84:85], v[50:51], s[20:21], v[82:83] op_sel:[0,0,1] op_sel_hi:[1,0,0]
	v_pk_fma_f32 v[82:83], v[50:51], s[20:21], v[82:83] op_sel:[0,0,1] op_sel_hi:[1,0,0] neg_lo:[0,0,1] neg_hi:[0,0,1]
	v_mov_b32_e32 v86, v84
	v_mov_b32_e32 v87, v83
	v_pk_add_f32 v[76:77], v[86:87], v[76:77]
	v_pk_mul_f32 v[86:87], v[52:53], s[26:27] op_sel_hi:[1,0]
	v_pk_fma_f32 v[98:99], v[28:29], s[20:21], v[96:97] op_sel:[0,0,1] op_sel_hi:[1,0,0]
	v_pk_fma_f32 v[88:89], v[54:55], s[8:9], v[86:87] op_sel:[0,0,1] op_sel_hi:[1,0,0]
	v_pk_fma_f32 v[86:87], v[54:55], s[8:9], v[86:87] op_sel:[0,0,1] op_sel_hi:[1,0,0] neg_lo:[0,0,1] neg_hi:[0,0,1]
	v_mov_b32_e32 v90, v88
	v_mov_b32_e32 v91, v87
	v_pk_add_f32 v[76:77], v[90:91], v[76:77]
	v_pk_mul_f32 v[90:91], v[62:63], s[28:29] op_sel_hi:[1,0]
	v_pk_fma_f32 v[96:97], v[28:29], s[20:21], v[96:97] op_sel:[0,0,1] op_sel_hi:[1,0,0] neg_lo:[0,0,1] neg_hi:[0,0,1]
	v_pk_fma_f32 v[92:93], v[64:65], s[10:11], v[90:91] op_sel:[0,0,1] op_sel_hi:[1,0,0]
	v_pk_fma_f32 v[90:91], v[64:65], s[10:11], v[90:91] op_sel:[0,0,1] op_sel_hi:[1,0,0] neg_lo:[0,0,1] neg_hi:[0,0,1]
	v_mov_b32_e32 v94, v92
	v_mov_b32_e32 v95, v91
	v_pk_add_f32 v[76:77], v[94:95], v[76:77]
	ds_write2_b64 v25, v[56:57], v[76:77] offset0:24 offset1:48
	v_pk_mul_f32 v[56:57], v[12:13], s[12:13] op_sel_hi:[1,0]
	v_mov_b32_e32 v100, v98
	v_pk_fma_f32 v[76:77], v[14:15], s[8:9], v[56:57] op_sel:[0,0,1] op_sel_hi:[1,0,0]
	v_pk_fma_f32 v[56:57], v[14:15], s[8:9], v[56:57] op_sel:[0,0,1] op_sel_hi:[1,0,0] neg_lo:[0,0,1] neg_hi:[0,0,1]
	v_mov_b32_e32 v94, v76
	v_mov_b32_e32 v95, v57
	v_pk_add_f32 v[94:95], v[26:27], v[94:95]
	v_mov_b32_e32 v101, v97
	s_mov_b32 s24, 0x3f68dda4
	v_pk_add_f32 v[94:95], v[100:101], v[94:95]
	v_pk_mul_f32 v[100:101], v[44:45], s[24:25] op_sel_hi:[1,0]
	v_pk_mul_f32 v[118:119], v[16:17], s[26:27] op_sel_hi:[1,0]
	v_pk_fma_f32 v[102:103], v[50:51], s[0:1], v[100:101] op_sel:[0,0,1] op_sel_hi:[1,0,0]
	v_pk_fma_f32 v[100:101], v[50:51], s[0:1], v[100:101] op_sel:[0,0,1] op_sel_hi:[1,0,0] neg_lo:[0,0,1] neg_hi:[0,0,1]
	v_mov_b32_e32 v104, v102
	v_mov_b32_e32 v105, v101
	v_pk_add_f32 v[94:95], v[104:105], v[94:95]
	v_pk_mul_f32 v[104:105], v[52:53], s[18:19] op_sel_hi:[1,0]
	v_pk_fma_f32 v[120:121], v[28:29], s[8:9], v[118:119] op_sel:[0,0,1] op_sel_hi:[1,0,0]
	v_pk_fma_f32 v[106:107], v[54:55], s[10:11], v[104:105] op_sel:[0,0,1] op_sel_hi:[1,0,0]
	v_pk_fma_f32 v[104:105], v[54:55], s[10:11], v[104:105] op_sel:[0,0,1] op_sel_hi:[1,0,0] neg_lo:[0,0,1] neg_hi:[0,0,1]
	v_mov_b32_e32 v108, v106
	v_mov_b32_e32 v109, v105
	v_pk_add_f32 v[94:95], v[108:109], v[94:95]
	v_pk_mul_f32 v[108:109], v[62:63], s[16:17] op_sel_hi:[1,0]
	v_pk_fma_f32 v[118:119], v[28:29], s[8:9], v[118:119] op_sel:[0,0,1] op_sel_hi:[1,0,0] neg_lo:[0,0,1] neg_hi:[0,0,1]
	v_pk_fma_f32 v[110:111], v[64:65], s[14:15], v[108:109] op_sel:[0,0,1] op_sel_hi:[1,0,0]
	v_pk_fma_f32 v[108:109], v[64:65], s[14:15], v[108:109] op_sel:[0,0,1] op_sel_hi:[1,0,0] neg_lo:[0,0,1] neg_hi:[0,0,1]
	v_mov_b32_e32 v112, v110
	v_mov_b32_e32 v113, v109
	v_pk_add_f32 v[94:95], v[112:113], v[94:95]
	v_pk_mul_f32 v[112:113], v[12:13], s[16:17] op_sel_hi:[1,0]
	v_mov_b32_e32 v122, v120
	v_pk_fma_f32 v[114:115], v[14:15], s[14:15], v[112:113] op_sel:[0,0,1] op_sel_hi:[1,0,0]
	v_pk_fma_f32 v[112:113], v[14:15], s[14:15], v[112:113] op_sel:[0,0,1] op_sel_hi:[1,0,0] neg_lo:[0,0,1] neg_hi:[0,0,1]
	v_mov_b32_e32 v116, v114
	v_mov_b32_e32 v117, v113
	v_pk_add_f32 v[116:117], v[26:27], v[116:117]
	v_mov_b32_e32 v123, v119
	v_pk_add_f32 v[116:117], v[122:123], v[116:117]
	v_pk_mul_f32 v[122:123], v[44:45], s[18:19] op_sel_hi:[1,0]
	v_pk_mul_f32 v[12:13], v[12:13], s[22:23] op_sel_hi:[1,0]
	v_pk_fma_f32 v[124:125], v[50:51], s[10:11], v[122:123] op_sel:[0,0,1] op_sel_hi:[1,0,0]
	v_pk_fma_f32 v[122:123], v[50:51], s[10:11], v[122:123] op_sel:[0,0,1] op_sel_hi:[1,0,0] neg_lo:[0,0,1] neg_hi:[0,0,1]
	v_mov_b32_e32 v126, v124
	v_mov_b32_e32 v127, v123
	v_pk_add_f32 v[116:117], v[126:127], v[116:117]
	v_pk_mul_f32 v[126:127], v[52:53], s[22:23] op_sel_hi:[1,0]
	v_pk_mul_f32 v[44:45], v[44:45], s[16:17] op_sel_hi:[1,0]
	v_pk_fma_f32 v[128:129], v[54:55], s[20:21], v[126:127] op_sel:[0,0,1] op_sel_hi:[1,0,0]
	v_pk_fma_f32 v[126:127], v[54:55], s[20:21], v[126:127] op_sel:[0,0,1] op_sel_hi:[1,0,0] neg_lo:[0,0,1] neg_hi:[0,0,1]
	v_mov_b32_e32 v130, v128
	v_mov_b32_e32 v131, v127
	v_pk_add_f32 v[116:117], v[130:131], v[116:117]
	v_pk_mul_f32 v[130:131], v[62:63], s[24:25] op_sel_hi:[1,0]
	v_mov_b32_e32 v113, v115
	v_pk_fma_f32 v[132:133], v[64:65], s[0:1], v[130:131] op_sel:[0,0,1] op_sel_hi:[1,0,0]
	v_pk_fma_f32 v[130:131], v[64:65], s[0:1], v[130:131] op_sel:[0,0,1] op_sel_hi:[1,0,0] neg_lo:[0,0,1] neg_hi:[0,0,1]
	v_mov_b32_e32 v134, v132
	v_mov_b32_e32 v135, v131
	v_pk_add_f32 v[116:117], v[134:135], v[116:117]
	ds_write2_b64 v25, v[94:95], v[116:117] offset0:72 offset1:96
	v_pk_fma_f32 v[94:95], v[14:15], s[20:21], v[12:13] op_sel:[0,0,1] op_sel_hi:[1,0,0]
	v_pk_fma_f32 v[12:13], v[14:15], s[20:21], v[12:13] op_sel:[0,0,1] op_sel_hi:[1,0,0] neg_lo:[0,0,1] neg_hi:[0,0,1]
	v_pk_mul_f32 v[14:15], v[16:17], s[28:29] op_sel_hi:[1,0]
	v_mov_b32_e32 v57, v77
	v_pk_fma_f32 v[16:17], v[28:29], s[10:11], v[14:15] op_sel:[0,0,1] op_sel_hi:[1,0,0]
	v_pk_fma_f32 v[14:15], v[28:29], s[10:11], v[14:15] op_sel:[0,0,1] op_sel_hi:[1,0,0] neg_lo:[0,0,1] neg_hi:[0,0,1]
	v_mov_b32_e32 v28, v94
	v_mov_b32_e32 v29, v13
	v_pk_add_f32 v[28:29], v[26:27], v[28:29]
	v_mov_b32_e32 v116, v16
	v_mov_b32_e32 v117, v15
	v_pk_add_f32 v[28:29], v[116:117], v[28:29]
	v_pk_fma_f32 v[116:117], v[50:51], s[14:15], v[44:45] op_sel:[0,0,1] op_sel_hi:[1,0,0]
	v_pk_fma_f32 v[44:45], v[50:51], s[14:15], v[44:45] op_sel:[0,0,1] op_sel_hi:[1,0,0] neg_lo:[0,0,1] neg_hi:[0,0,1]
	v_mov_b32_e32 v50, v116
	v_mov_b32_e32 v51, v45
	v_pk_add_f32 v[28:29], v[50:51], v[28:29]
	v_pk_mul_f32 v[50:51], v[52:53], s[24:25] op_sel_hi:[1,0]
	v_mov_b32_e32 v13, v95
	v_pk_fma_f32 v[52:53], v[54:55], s[0:1], v[50:51] op_sel:[0,0,1] op_sel_hi:[1,0,0]
	v_pk_fma_f32 v[50:51], v[54:55], s[0:1], v[50:51] op_sel:[0,0,1] op_sel_hi:[1,0,0] neg_lo:[0,0,1] neg_hi:[0,0,1]
	v_mov_b32_e32 v54, v52
	v_mov_b32_e32 v55, v51
	;; [unrolled: 1-line block ×3, first 2 shown]
	v_pk_add_f32 v[12:13], v[26:27], v[12:13]
	v_pk_add_f32 v[28:29], v[54:55], v[28:29]
	v_pk_mul_f32 v[54:55], v[62:63], s[12:13] op_sel_hi:[1,0]
	v_pk_add_f32 v[12:13], v[14:15], v[12:13]
	v_mov_b32_e32 v45, v117
	v_pk_fma_f32 v[62:63], v[64:65], s[8:9], v[54:55] op_sel:[0,0,1] op_sel_hi:[1,0,0]
	v_pk_fma_f32 v[54:55], v[64:65], s[8:9], v[54:55] op_sel:[0,0,1] op_sel_hi:[1,0,0] neg_lo:[0,0,1] neg_hi:[0,0,1]
	v_pk_add_f32 v[12:13], v[44:45], v[12:13]
	v_mov_b32_e32 v51, v53
	v_mov_b32_e32 v64, v62
	;; [unrolled: 1-line block ×3, first 2 shown]
	v_pk_add_f32 v[12:13], v[50:51], v[12:13]
	v_mov_b32_e32 v55, v63
	v_pk_add_f32 v[28:29], v[64:65], v[28:29]
	v_pk_add_f32 v[12:13], v[54:55], v[12:13]
	ds_write2_b64 v25, v[28:29], v[12:13] offset0:120 offset1:144
	v_pk_add_f32 v[12:13], v[26:27], v[48:49]
	v_mov_b32_e32 v119, v121
	v_pk_add_f32 v[12:13], v[12:13], v[40:41]
	v_mov_b32_e32 v97, v99
	v_pk_add_f32 v[12:13], v[12:13], v[36:37]
	v_pk_add_f32 v[14:15], v[26:27], v[56:57]
	;; [unrolled: 1-line block ×3, first 2 shown]
	v_mov_b32_e32 v123, v125
	v_pk_add_f32 v[12:13], v[12:13], v[46:47]
	v_pk_add_f32 v[14:15], v[96:97], v[14:15]
	;; [unrolled: 1-line block ×3, first 2 shown]
	v_mov_b32_e32 v101, v103
	v_pk_add_f32 v[12:13], v[12:13], v[32:33]
	v_mov_b32_e32 v127, v129
	v_pk_add_f32 v[12:13], v[12:13], v[34:35]
	v_pk_add_f32 v[14:15], v[100:101], v[14:15]
	;; [unrolled: 1-line block ×3, first 2 shown]
	v_mov_b32_e32 v105, v107
	v_pk_add_f32 v[12:13], v[12:13], v[70:71]
	ds_write_b64 v31, v[12:13]
	v_pk_add_f32 v[12:13], v[26:27], v[112:113]
	v_mov_b32_e32 v131, v133
	v_pk_add_f32 v[12:13], v[118:119], v[12:13]
	v_pk_add_f32 v[14:15], v[104:105], v[14:15]
	;; [unrolled: 1-line block ×3, first 2 shown]
	v_mov_b32_e32 v109, v111
	v_pk_add_f32 v[12:13], v[126:127], v[12:13]
	v_pk_add_f32 v[14:15], v[108:109], v[14:15]
	;; [unrolled: 1-line block ×3, first 2 shown]
	v_mov_b32_e32 v73, v75
	v_mov_b32_e32 v11, v9
	ds_write2_b64 v25, v[12:13], v[14:15] offset0:168 offset1:192
	v_pk_add_f32 v[12:13], v[26:27], v[72:73]
	v_mov_b32_e32 v79, v81
	v_pk_add_f32 v[8:9], v[26:27], v[10:11]
	v_mov_b32_e32 v7, v5
	;; [unrolled: 2-line block ×8, first 2 shown]
	v_pk_add_f32 v[12:13], v[90:91], v[12:13]
	v_pk_add_f32 v[0:1], v[66:67], v[0:1]
	ds_write2_b64 v25, v[12:13], v[0:1] offset0:216 offset1:240
.LBB0_26:
	s_or_b64 exec, exec, s[4:5]
	s_waitcnt lgkmcnt(0)
	s_barrier
	s_and_saveexec_b64 s[0:1], vcc
	s_cbranch_execz .LBB0_28
; %bb.27:
	v_mul_lo_u32 v0, s3, v22
	v_mul_lo_u32 v1, s2, v23
	v_mad_u64_u32 v[4:5], s[0:1], s2, v22, 0
	v_lshl_add_u32 v10, v24, 3, v30
	v_add3_u32 v5, v5, v1, v0
	ds_read2_b64 v[0:3], v10 offset1:33
	v_lshl_add_u64 v[4:5], v[4:5], 3, s[6:7]
	v_mov_b32_e32 v25, 0
	v_lshl_add_u64 v[8:9], v[20:21], 3, v[4:5]
	v_lshl_add_u64 v[4:5], v[24:25], 3, v[8:9]
	s_waitcnt lgkmcnt(0)
	global_store_dwordx2 v[4:5], v[0:1], off
	ds_read2_b64 v[4:7], v10 offset0:66 offset1:99
	v_add_u32_e32 v0, 33, v24
	v_mov_b32_e32 v1, v25
	v_lshl_add_u64 v[0:1], v[0:1], 3, v[8:9]
	global_store_dwordx2 v[0:1], v[2:3], off
	v_add_u32_e32 v0, 0x42, v24
	v_mov_b32_e32 v1, v25
	v_lshl_add_u64 v[0:1], v[0:1], 3, v[8:9]
	s_waitcnt lgkmcnt(0)
	global_store_dwordx2 v[0:1], v[4:5], off
	v_add_u32_e32 v0, 0x63, v24
	v_mov_b32_e32 v1, v25
	v_lshl_add_u64 v[4:5], v[0:1], 3, v[8:9]
	ds_read2_b64 v[0:3], v10 offset0:132 offset1:165
	global_store_dwordx2 v[4:5], v[6:7], off
	v_add_u32_e32 v4, 0x84, v24
	v_mov_b32_e32 v5, v25
	v_lshl_add_u64 v[4:5], v[4:5], 3, v[8:9]
	s_waitcnt lgkmcnt(0)
	global_store_dwordx2 v[4:5], v[0:1], off
	ds_read2_b64 v[4:7], v10 offset0:198 offset1:231
	v_add_u32_e32 v0, 0xa5, v24
	v_mov_b32_e32 v1, v25
	v_lshl_add_u64 v[0:1], v[0:1], 3, v[8:9]
	global_store_dwordx2 v[0:1], v[2:3], off
	v_add_u32_e32 v0, 0xc6, v24
	v_mov_b32_e32 v1, v25
	v_lshl_add_u64 v[0:1], v[0:1], 3, v[8:9]
	v_add_u32_e32 v24, 0xe7, v24
	s_waitcnt lgkmcnt(0)
	global_store_dwordx2 v[0:1], v[4:5], off
	v_lshl_add_u64 v[0:1], v[24:25], 3, v[8:9]
	global_store_dwordx2 v[0:1], v[6:7], off
.LBB0_28:
	s_endpgm
	.section	.rodata,"a",@progbits
	.p2align	6, 0x0
	.amdhsa_kernel fft_rtc_back_len264_factors_8_3_11_wgs_231_tpt_33_sp_op_CI_CI_unitstride_sbrr_C2R_dirReg
		.amdhsa_group_segment_fixed_size 0
		.amdhsa_private_segment_fixed_size 0
		.amdhsa_kernarg_size 104
		.amdhsa_user_sgpr_count 2
		.amdhsa_user_sgpr_dispatch_ptr 0
		.amdhsa_user_sgpr_queue_ptr 0
		.amdhsa_user_sgpr_kernarg_segment_ptr 1
		.amdhsa_user_sgpr_dispatch_id 0
		.amdhsa_user_sgpr_kernarg_preload_length 0
		.amdhsa_user_sgpr_kernarg_preload_offset 0
		.amdhsa_user_sgpr_private_segment_size 0
		.amdhsa_uses_dynamic_stack 0
		.amdhsa_enable_private_segment 0
		.amdhsa_system_sgpr_workgroup_id_x 1
		.amdhsa_system_sgpr_workgroup_id_y 0
		.amdhsa_system_sgpr_workgroup_id_z 0
		.amdhsa_system_sgpr_workgroup_info 0
		.amdhsa_system_vgpr_workitem_id 0
		.amdhsa_next_free_vgpr 136
		.amdhsa_next_free_sgpr 30
		.amdhsa_accum_offset 136
		.amdhsa_reserve_vcc 1
		.amdhsa_float_round_mode_32 0
		.amdhsa_float_round_mode_16_64 0
		.amdhsa_float_denorm_mode_32 3
		.amdhsa_float_denorm_mode_16_64 3
		.amdhsa_dx10_clamp 1
		.amdhsa_ieee_mode 1
		.amdhsa_fp16_overflow 0
		.amdhsa_tg_split 0
		.amdhsa_exception_fp_ieee_invalid_op 0
		.amdhsa_exception_fp_denorm_src 0
		.amdhsa_exception_fp_ieee_div_zero 0
		.amdhsa_exception_fp_ieee_overflow 0
		.amdhsa_exception_fp_ieee_underflow 0
		.amdhsa_exception_fp_ieee_inexact 0
		.amdhsa_exception_int_div_zero 0
	.end_amdhsa_kernel
	.text
.Lfunc_end0:
	.size	fft_rtc_back_len264_factors_8_3_11_wgs_231_tpt_33_sp_op_CI_CI_unitstride_sbrr_C2R_dirReg, .Lfunc_end0-fft_rtc_back_len264_factors_8_3_11_wgs_231_tpt_33_sp_op_CI_CI_unitstride_sbrr_C2R_dirReg
                                        ; -- End function
	.section	.AMDGPU.csdata,"",@progbits
; Kernel info:
; codeLenInByte = 5948
; NumSgprs: 36
; NumVgprs: 136
; NumAgprs: 0
; TotalNumVgprs: 136
; ScratchSize: 0
; MemoryBound: 0
; FloatMode: 240
; IeeeMode: 1
; LDSByteSize: 0 bytes/workgroup (compile time only)
; SGPRBlocks: 4
; VGPRBlocks: 16
; NumSGPRsForWavesPerEU: 36
; NumVGPRsForWavesPerEU: 136
; AccumOffset: 136
; Occupancy: 3
; WaveLimiterHint : 1
; COMPUTE_PGM_RSRC2:SCRATCH_EN: 0
; COMPUTE_PGM_RSRC2:USER_SGPR: 2
; COMPUTE_PGM_RSRC2:TRAP_HANDLER: 0
; COMPUTE_PGM_RSRC2:TGID_X_EN: 1
; COMPUTE_PGM_RSRC2:TGID_Y_EN: 0
; COMPUTE_PGM_RSRC2:TGID_Z_EN: 0
; COMPUTE_PGM_RSRC2:TIDIG_COMP_CNT: 0
; COMPUTE_PGM_RSRC3_GFX90A:ACCUM_OFFSET: 33
; COMPUTE_PGM_RSRC3_GFX90A:TG_SPLIT: 0
	.text
	.p2alignl 6, 3212836864
	.fill 256, 4, 3212836864
	.type	__hip_cuid_ea3928d1d8fa1b3,@object ; @__hip_cuid_ea3928d1d8fa1b3
	.section	.bss,"aw",@nobits
	.globl	__hip_cuid_ea3928d1d8fa1b3
__hip_cuid_ea3928d1d8fa1b3:
	.byte	0                               ; 0x0
	.size	__hip_cuid_ea3928d1d8fa1b3, 1

	.ident	"AMD clang version 19.0.0git (https://github.com/RadeonOpenCompute/llvm-project roc-6.4.0 25133 c7fe45cf4b819c5991fe208aaa96edf142730f1d)"
	.section	".note.GNU-stack","",@progbits
	.addrsig
	.addrsig_sym __hip_cuid_ea3928d1d8fa1b3
	.amdgpu_metadata
---
amdhsa.kernels:
  - .agpr_count:     0
    .args:
      - .actual_access:  read_only
        .address_space:  global
        .offset:         0
        .size:           8
        .value_kind:     global_buffer
      - .offset:         8
        .size:           8
        .value_kind:     by_value
      - .actual_access:  read_only
        .address_space:  global
        .offset:         16
        .size:           8
        .value_kind:     global_buffer
      - .actual_access:  read_only
        .address_space:  global
        .offset:         24
        .size:           8
        .value_kind:     global_buffer
      - .actual_access:  read_only
        .address_space:  global
        .offset:         32
        .size:           8
        .value_kind:     global_buffer
      - .offset:         40
        .size:           8
        .value_kind:     by_value
      - .actual_access:  read_only
        .address_space:  global
        .offset:         48
        .size:           8
        .value_kind:     global_buffer
      - .actual_access:  read_only
        .address_space:  global
        .offset:         56
        .size:           8
        .value_kind:     global_buffer
      - .offset:         64
        .size:           4
        .value_kind:     by_value
      - .actual_access:  read_only
        .address_space:  global
        .offset:         72
        .size:           8
        .value_kind:     global_buffer
      - .actual_access:  read_only
        .address_space:  global
        .offset:         80
        .size:           8
        .value_kind:     global_buffer
      - .actual_access:  read_only
        .address_space:  global
        .offset:         88
        .size:           8
        .value_kind:     global_buffer
      - .actual_access:  write_only
        .address_space:  global
        .offset:         96
        .size:           8
        .value_kind:     global_buffer
    .group_segment_fixed_size: 0
    .kernarg_segment_align: 8
    .kernarg_segment_size: 104
    .language:       OpenCL C
    .language_version:
      - 2
      - 0
    .max_flat_workgroup_size: 231
    .name:           fft_rtc_back_len264_factors_8_3_11_wgs_231_tpt_33_sp_op_CI_CI_unitstride_sbrr_C2R_dirReg
    .private_segment_fixed_size: 0
    .sgpr_count:     36
    .sgpr_spill_count: 0
    .symbol:         fft_rtc_back_len264_factors_8_3_11_wgs_231_tpt_33_sp_op_CI_CI_unitstride_sbrr_C2R_dirReg.kd
    .uniform_work_group_size: 1
    .uses_dynamic_stack: false
    .vgpr_count:     136
    .vgpr_spill_count: 0
    .wavefront_size: 64
amdhsa.target:   amdgcn-amd-amdhsa--gfx950
amdhsa.version:
  - 1
  - 2
...

	.end_amdgpu_metadata
